;; amdgpu-corpus repo=ROCm/rocFFT kind=compiled arch=gfx906 opt=O3
	.text
	.amdgcn_target "amdgcn-amd-amdhsa--gfx906"
	.amdhsa_code_object_version 6
	.protected	fft_rtc_back_len660_factors_11_6_10_wgs_110_tpt_110_halfLds_half_ip_CI_sbrr_dirReg ; -- Begin function fft_rtc_back_len660_factors_11_6_10_wgs_110_tpt_110_halfLds_half_ip_CI_sbrr_dirReg
	.globl	fft_rtc_back_len660_factors_11_6_10_wgs_110_tpt_110_halfLds_half_ip_CI_sbrr_dirReg
	.p2align	8
	.type	fft_rtc_back_len660_factors_11_6_10_wgs_110_tpt_110_halfLds_half_ip_CI_sbrr_dirReg,@function
fft_rtc_back_len660_factors_11_6_10_wgs_110_tpt_110_halfLds_half_ip_CI_sbrr_dirReg: ; @fft_rtc_back_len660_factors_11_6_10_wgs_110_tpt_110_halfLds_half_ip_CI_sbrr_dirReg
; %bb.0:
	s_load_dwordx2 s[2:3], s[4:5], 0x18
	s_load_dwordx4 s[8:11], s[4:5], 0x0
	s_load_dwordx2 s[14:15], s[4:5], 0x50
	v_mul_u32_u24_e32 v1, 0x254, v0
	v_add_u32_sdwa v5, s6, v1 dst_sel:DWORD dst_unused:UNUSED_PAD src0_sel:DWORD src1_sel:WORD_1
	s_waitcnt lgkmcnt(0)
	s_load_dwordx2 s[12:13], s[2:3], 0x0
	v_cmp_lt_u64_e64 s[0:1], s[10:11], 2
	v_mov_b32_e32 v3, 0
	v_mov_b32_e32 v1, 0
	;; [unrolled: 1-line block ×3, first 2 shown]
	s_and_b64 vcc, exec, s[0:1]
	v_mov_b32_e32 v2, 0
	s_cbranch_vccnz .LBB0_8
; %bb.1:
	s_load_dwordx2 s[0:1], s[4:5], 0x10
	s_add_u32 s6, s2, 8
	s_addc_u32 s7, s3, 0
	v_mov_b32_e32 v1, 0
	v_mov_b32_e32 v2, 0
	s_waitcnt lgkmcnt(0)
	s_add_u32 s16, s0, 8
	s_addc_u32 s17, s1, 0
	s_mov_b64 s[18:19], 1
.LBB0_2:                                ; =>This Inner Loop Header: Depth=1
	s_load_dwordx2 s[20:21], s[16:17], 0x0
                                        ; implicit-def: $vgpr7_vgpr8
	s_waitcnt lgkmcnt(0)
	v_or_b32_e32 v4, s21, v6
	v_cmp_ne_u64_e32 vcc, 0, v[3:4]
	s_and_saveexec_b64 s[0:1], vcc
	s_xor_b64 s[22:23], exec, s[0:1]
	s_cbranch_execz .LBB0_4
; %bb.3:                                ;   in Loop: Header=BB0_2 Depth=1
	v_cvt_f32_u32_e32 v4, s20
	v_cvt_f32_u32_e32 v7, s21
	s_sub_u32 s0, 0, s20
	s_subb_u32 s1, 0, s21
	v_mac_f32_e32 v4, 0x4f800000, v7
	v_rcp_f32_e32 v4, v4
	v_mul_f32_e32 v4, 0x5f7ffffc, v4
	v_mul_f32_e32 v7, 0x2f800000, v4
	v_trunc_f32_e32 v7, v7
	v_mac_f32_e32 v4, 0xcf800000, v7
	v_cvt_u32_f32_e32 v7, v7
	v_cvt_u32_f32_e32 v4, v4
	v_mul_lo_u32 v8, s0, v7
	v_mul_hi_u32 v9, s0, v4
	v_mul_lo_u32 v11, s1, v4
	v_mul_lo_u32 v10, s0, v4
	v_add_u32_e32 v8, v9, v8
	v_add_u32_e32 v8, v8, v11
	v_mul_hi_u32 v9, v4, v10
	v_mul_lo_u32 v11, v4, v8
	v_mul_hi_u32 v13, v4, v8
	v_mul_hi_u32 v12, v7, v10
	v_mul_lo_u32 v10, v7, v10
	v_mul_hi_u32 v14, v7, v8
	v_add_co_u32_e32 v9, vcc, v9, v11
	v_addc_co_u32_e32 v11, vcc, 0, v13, vcc
	v_mul_lo_u32 v8, v7, v8
	v_add_co_u32_e32 v9, vcc, v9, v10
	v_addc_co_u32_e32 v9, vcc, v11, v12, vcc
	v_addc_co_u32_e32 v10, vcc, 0, v14, vcc
	v_add_co_u32_e32 v8, vcc, v9, v8
	v_addc_co_u32_e32 v9, vcc, 0, v10, vcc
	v_add_co_u32_e32 v4, vcc, v4, v8
	v_addc_co_u32_e32 v7, vcc, v7, v9, vcc
	v_mul_lo_u32 v8, s0, v7
	v_mul_hi_u32 v9, s0, v4
	v_mul_lo_u32 v10, s1, v4
	v_mul_lo_u32 v11, s0, v4
	v_add_u32_e32 v8, v9, v8
	v_add_u32_e32 v8, v8, v10
	v_mul_lo_u32 v12, v4, v8
	v_mul_hi_u32 v13, v4, v11
	v_mul_hi_u32 v14, v4, v8
	;; [unrolled: 1-line block ×3, first 2 shown]
	v_mul_lo_u32 v11, v7, v11
	v_mul_hi_u32 v9, v7, v8
	v_add_co_u32_e32 v12, vcc, v13, v12
	v_addc_co_u32_e32 v13, vcc, 0, v14, vcc
	v_mul_lo_u32 v8, v7, v8
	v_add_co_u32_e32 v11, vcc, v12, v11
	v_addc_co_u32_e32 v10, vcc, v13, v10, vcc
	v_addc_co_u32_e32 v9, vcc, 0, v9, vcc
	v_add_co_u32_e32 v8, vcc, v10, v8
	v_addc_co_u32_e32 v9, vcc, 0, v9, vcc
	v_add_co_u32_e32 v4, vcc, v4, v8
	v_addc_co_u32_e32 v9, vcc, v7, v9, vcc
	v_mad_u64_u32 v[7:8], s[0:1], v5, v9, 0
	v_mul_hi_u32 v10, v5, v4
	v_add_co_u32_e32 v11, vcc, v10, v7
	v_addc_co_u32_e32 v12, vcc, 0, v8, vcc
	v_mad_u64_u32 v[7:8], s[0:1], v6, v4, 0
	v_mad_u64_u32 v[9:10], s[0:1], v6, v9, 0
	v_add_co_u32_e32 v4, vcc, v11, v7
	v_addc_co_u32_e32 v4, vcc, v12, v8, vcc
	v_addc_co_u32_e32 v7, vcc, 0, v10, vcc
	v_add_co_u32_e32 v4, vcc, v4, v9
	v_addc_co_u32_e32 v9, vcc, 0, v7, vcc
	v_mul_lo_u32 v10, s21, v4
	v_mul_lo_u32 v11, s20, v9
	v_mad_u64_u32 v[7:8], s[0:1], s20, v4, 0
	v_add3_u32 v8, v8, v11, v10
	v_sub_u32_e32 v10, v6, v8
	v_mov_b32_e32 v11, s21
	v_sub_co_u32_e32 v7, vcc, v5, v7
	v_subb_co_u32_e64 v10, s[0:1], v10, v11, vcc
	v_subrev_co_u32_e64 v11, s[0:1], s20, v7
	v_subbrev_co_u32_e64 v10, s[0:1], 0, v10, s[0:1]
	v_cmp_le_u32_e64 s[0:1], s21, v10
	v_cndmask_b32_e64 v12, 0, -1, s[0:1]
	v_cmp_le_u32_e64 s[0:1], s20, v11
	v_cndmask_b32_e64 v11, 0, -1, s[0:1]
	v_cmp_eq_u32_e64 s[0:1], s21, v10
	v_cndmask_b32_e64 v10, v12, v11, s[0:1]
	v_add_co_u32_e64 v11, s[0:1], 2, v4
	v_addc_co_u32_e64 v12, s[0:1], 0, v9, s[0:1]
	v_add_co_u32_e64 v13, s[0:1], 1, v4
	v_addc_co_u32_e64 v14, s[0:1], 0, v9, s[0:1]
	v_subb_co_u32_e32 v8, vcc, v6, v8, vcc
	v_cmp_ne_u32_e64 s[0:1], 0, v10
	v_cmp_le_u32_e32 vcc, s21, v8
	v_cndmask_b32_e64 v10, v14, v12, s[0:1]
	v_cndmask_b32_e64 v12, 0, -1, vcc
	v_cmp_le_u32_e32 vcc, s20, v7
	v_cndmask_b32_e64 v7, 0, -1, vcc
	v_cmp_eq_u32_e32 vcc, s21, v8
	v_cndmask_b32_e32 v7, v12, v7, vcc
	v_cmp_ne_u32_e32 vcc, 0, v7
	v_cndmask_b32_e64 v7, v13, v11, s[0:1]
	v_cndmask_b32_e32 v8, v9, v10, vcc
	v_cndmask_b32_e32 v7, v4, v7, vcc
.LBB0_4:                                ;   in Loop: Header=BB0_2 Depth=1
	s_andn2_saveexec_b64 s[0:1], s[22:23]
	s_cbranch_execz .LBB0_6
; %bb.5:                                ;   in Loop: Header=BB0_2 Depth=1
	v_cvt_f32_u32_e32 v4, s20
	s_sub_i32 s22, 0, s20
	v_rcp_iflag_f32_e32 v4, v4
	v_mul_f32_e32 v4, 0x4f7ffffe, v4
	v_cvt_u32_f32_e32 v4, v4
	v_mul_lo_u32 v7, s22, v4
	v_mul_hi_u32 v7, v4, v7
	v_add_u32_e32 v4, v4, v7
	v_mul_hi_u32 v4, v5, v4
	v_mul_lo_u32 v7, v4, s20
	v_add_u32_e32 v8, 1, v4
	v_sub_u32_e32 v7, v5, v7
	v_subrev_u32_e32 v9, s20, v7
	v_cmp_le_u32_e32 vcc, s20, v7
	v_cndmask_b32_e32 v7, v7, v9, vcc
	v_cndmask_b32_e32 v4, v4, v8, vcc
	v_add_u32_e32 v8, 1, v4
	v_cmp_le_u32_e32 vcc, s20, v7
	v_cndmask_b32_e32 v7, v4, v8, vcc
	v_mov_b32_e32 v8, v3
.LBB0_6:                                ;   in Loop: Header=BB0_2 Depth=1
	s_or_b64 exec, exec, s[0:1]
	v_mul_lo_u32 v4, v8, s20
	v_mul_lo_u32 v11, v7, s21
	v_mad_u64_u32 v[9:10], s[0:1], v7, s20, 0
	s_load_dwordx2 s[0:1], s[6:7], 0x0
	s_add_u32 s18, s18, 1
	v_add3_u32 v4, v10, v11, v4
	v_sub_co_u32_e32 v5, vcc, v5, v9
	v_subb_co_u32_e32 v4, vcc, v6, v4, vcc
	s_waitcnt lgkmcnt(0)
	v_mul_lo_u32 v4, s0, v4
	v_mul_lo_u32 v6, s1, v5
	v_mad_u64_u32 v[1:2], s[0:1], s0, v5, v[1:2]
	s_addc_u32 s19, s19, 0
	s_add_u32 s6, s6, 8
	v_add3_u32 v2, v6, v2, v4
	v_mov_b32_e32 v4, s10
	v_mov_b32_e32 v5, s11
	s_addc_u32 s7, s7, 0
	v_cmp_ge_u64_e32 vcc, s[18:19], v[4:5]
	s_add_u32 s16, s16, 8
	s_addc_u32 s17, s17, 0
	s_cbranch_vccnz .LBB0_9
; %bb.7:                                ;   in Loop: Header=BB0_2 Depth=1
	v_mov_b32_e32 v5, v7
	v_mov_b32_e32 v6, v8
	s_branch .LBB0_2
.LBB0_8:
	v_mov_b32_e32 v8, v6
	v_mov_b32_e32 v7, v5
.LBB0_9:
	s_lshl_b64 s[0:1], s[10:11], 3
	s_add_u32 s0, s2, s0
	s_addc_u32 s1, s3, s1
	s_load_dwordx2 s[2:3], s[0:1], 0x0
	s_load_dwordx2 s[6:7], s[4:5], 0x20
                                        ; implicit-def: $vgpr6
                                        ; implicit-def: $vgpr20
                                        ; implicit-def: $vgpr12
                                        ; implicit-def: $vgpr21
                                        ; implicit-def: $vgpr13
                                        ; implicit-def: $vgpr22
                                        ; implicit-def: $vgpr14
                                        ; implicit-def: $vgpr23
                                        ; implicit-def: $vgpr15
                                        ; implicit-def: $vgpr28
                                        ; implicit-def: $vgpr16
                                        ; implicit-def: $vgpr27
                                        ; implicit-def: $vgpr17
                                        ; implicit-def: $vgpr26
                                        ; implicit-def: $vgpr18
                                        ; implicit-def: $vgpr25
                                        ; implicit-def: $vgpr19
                                        ; implicit-def: $vgpr24
	s_waitcnt lgkmcnt(0)
	v_mad_u64_u32 v[1:2], s[0:1], s2, v7, v[1:2]
	s_mov_b32 s0, 0x253c826
	v_mul_lo_u32 v3, s2, v8
	v_mul_lo_u32 v4, s3, v7
	v_mul_hi_u32 v5, v0, s0
	v_cmp_gt_u64_e32 vcc, s[6:7], v[7:8]
                                        ; implicit-def: $vgpr7
	v_add3_u32 v2, v4, v2, v3
	v_mul_u32_u24_e32 v3, 0x6e, v5
	v_sub_u32_e32 v10, v0, v3
	v_cmp_gt_u32_e64 s[0:1], 60, v10
	v_lshlrev_b64 v[8:9], 2, v[1:2]
	s_and_b64 s[2:3], vcc, s[0:1]
	v_mov_b32_e32 v4, 0
	v_mov_b32_e32 v0, 0
                                        ; implicit-def: $vgpr5
	s_and_saveexec_b64 s[4:5], s[2:3]
	s_cbranch_execz .LBB0_11
; %bb.10:
	v_mad_u64_u32 v[0:1], s[2:3], s12, v10, 0
	v_add_u32_e32 v5, 60, v10
	v_mov_b32_e32 v4, s15
	v_mad_u64_u32 v[1:2], s[2:3], s13, v10, v[1:2]
	v_mad_u64_u32 v[2:3], s[2:3], s12, v5, 0
	v_add_co_u32_e64 v19, s[2:3], s14, v8
	v_addc_co_u32_e64 v34, s[2:3], v4, v9, s[2:3]
	v_mad_u64_u32 v[3:4], s[2:3], s13, v5, v[3:4]
	v_add_u32_e32 v6, 0x78, v10
	v_mad_u64_u32 v[4:5], s[2:3], s12, v6, 0
	v_lshlrev_b64 v[0:1], 2, v[0:1]
	v_add_u32_e32 v35, 0x21c, v10
	v_add_co_u32_e64 v11, s[2:3], v19, v0
	v_addc_co_u32_e64 v12, s[2:3], v34, v1, s[2:3]
	v_lshlrev_b64 v[0:1], 2, v[2:3]
	v_mov_b32_e32 v2, v5
	v_mad_u64_u32 v[2:3], s[2:3], s13, v6, v[2:3]
	v_add_u32_e32 v3, 0xb4, v10
	v_mad_u64_u32 v[6:7], s[2:3], s12, v3, 0
	v_add_co_u32_e64 v13, s[2:3], v19, v0
	v_mov_b32_e32 v5, v2
	v_mov_b32_e32 v2, v7
	v_addc_co_u32_e64 v14, s[2:3], v34, v1, s[2:3]
	v_lshlrev_b64 v[0:1], 2, v[4:5]
	v_mad_u64_u32 v[2:3], s[2:3], s13, v3, v[2:3]
	v_add_u32_e32 v5, 0xf0, v10
	v_mad_u64_u32 v[3:4], s[2:3], s12, v5, 0
	v_add_co_u32_e64 v15, s[2:3], v19, v0
	v_mov_b32_e32 v7, v2
	v_mov_b32_e32 v2, v4
	v_addc_co_u32_e64 v16, s[2:3], v34, v1, s[2:3]
	v_lshlrev_b64 v[0:1], 2, v[6:7]
	v_mad_u64_u32 v[4:5], s[2:3], s13, v5, v[2:3]
	v_add_u32_e32 v7, 0x12c, v10
	v_mad_u64_u32 v[5:6], s[2:3], s12, v7, 0
	v_add_co_u32_e64 v17, s[2:3], v19, v0
	v_mov_b32_e32 v2, v6
	v_addc_co_u32_e64 v18, s[2:3], v34, v1, s[2:3]
	v_lshlrev_b64 v[0:1], 2, v[3:4]
	v_mad_u64_u32 v[2:3], s[2:3], s13, v7, v[2:3]
	v_add_u32_e32 v7, 0x168, v10
	v_mad_u64_u32 v[3:4], s[2:3], s12, v7, 0
	v_add_co_u32_e64 v26, s[2:3], v19, v0
	v_mov_b32_e32 v6, v2
	v_mov_b32_e32 v2, v4
	v_addc_co_u32_e64 v27, s[2:3], v34, v1, s[2:3]
	v_lshlrev_b64 v[0:1], 2, v[5:6]
	v_mad_u64_u32 v[4:5], s[2:3], s13, v7, v[2:3]
	v_add_u32_e32 v7, 0x1a4, v10
	v_mad_u64_u32 v[5:6], s[2:3], s12, v7, 0
	v_add_co_u32_e64 v28, s[2:3], v19, v0
	v_mov_b32_e32 v2, v6
	v_addc_co_u32_e64 v29, s[2:3], v34, v1, s[2:3]
	v_lshlrev_b64 v[0:1], 2, v[3:4]
	v_mad_u64_u32 v[2:3], s[2:3], s13, v7, v[2:3]
	v_add_co_u32_e64 v3, s[2:3], v19, v0
	v_mov_b32_e32 v6, v2
	v_add_u32_e32 v2, 0x1e0, v10
	v_addc_co_u32_e64 v4, s[2:3], v34, v1, s[2:3]
	v_lshlrev_b64 v[0:1], 2, v[5:6]
	v_mad_u64_u32 v[5:6], s[2:3], s12, v2, 0
	v_add_co_u32_e64 v30, s[2:3], v19, v0
	v_mov_b32_e32 v0, v6
	v_addc_co_u32_e64 v31, s[2:3], v34, v1, s[2:3]
	v_mad_u64_u32 v[1:2], s[2:3], s13, v2, v[0:1]
	v_mad_u64_u32 v[32:33], s[2:3], s12, v35, 0
	global_load_dword v0, v[11:12], off
	global_load_dword v7, v[13:14], off
	;; [unrolled: 1-line block ×8, first 2 shown]
	v_mov_b32_e32 v6, v1
	v_mov_b32_e32 v3, v33
	v_lshlrev_b64 v[1:2], 2, v[5:6]
	v_mad_u64_u32 v[3:4], s[2:3], s13, v35, v[3:4]
	v_add_u32_e32 v6, 0x258, v10
	v_mad_u64_u32 v[4:5], s[2:3], s12, v6, 0
	v_add_co_u32_e64 v1, s[2:3], v19, v1
	v_mov_b32_e32 v33, v3
	v_mov_b32_e32 v3, v5
	v_addc_co_u32_e64 v2, s[2:3], v34, v2, s[2:3]
	v_mad_u64_u32 v[5:6], s[2:3], s13, v6, v[3:4]
	v_lshlrev_b64 v[11:12], 2, v[32:33]
	v_add_co_u32_e64 v11, s[2:3], v19, v11
	v_lshlrev_b64 v[3:4], 2, v[4:5]
	v_addc_co_u32_e64 v12, s[2:3], v34, v12, s[2:3]
	v_add_co_u32_e64 v3, s[2:3], v19, v3
	v_addc_co_u32_e64 v4, s[2:3], v34, v4, s[2:3]
	global_load_dword v26, v[1:2], off
	global_load_dword v27, v[11:12], off
	;; [unrolled: 1-line block ×3, first 2 shown]
	s_waitcnt vmcnt(10)
	v_lshrrev_b32_e32 v4, 16, v0
	s_waitcnt vmcnt(9)
	v_lshrrev_b32_e32 v5, 16, v7
	;; [unrolled: 2-line block ×11, first 2 shown]
.LBB0_11:
	s_or_b64 exec, exec, s[4:5]
	v_sub_f16_e32 v35, v5, v15
	s_mov_b32 s16, 0xbb47bbeb
	v_add_f16_e32 v34, v7, v28
	s_mov_b32 s4, 0x36a6b08e
	v_pk_mul_f16 v1, v35, s16 op_sel_hi:[0,1]
	v_sub_f16_e32 v33, v6, v16
	v_pk_fma_f16 v2, v34, s4, v1 op_sel_hi:[0,1,1] neg_lo:[0,0,1] neg_hi:[0,0,1]
	s_mov_b32 s17, 0xba0c3482
	v_add_f16_e32 v32, v20, v27
	v_pk_add_f16 v3, v0, v2 op_sel_hi:[0,1]
	s_mov_b32 s6, 0xb93dbbad
	v_pk_mul_f16 v2, v33, s17 op_sel_hi:[0,1]
	s_mov_b32 s18, 0x34823b47
	v_sub_f16_e32 v37, v12, v17
	v_pk_fma_f16 v11, v32, s6, v2 op_sel_hi:[0,1,1] neg_lo:[0,0,1] neg_hi:[0,0,1]
	s_mov_b32 s5, 0xbbad36a6
	v_add_f16_e32 v36, v21, v26
	v_pk_mul_f16 v29, v37, s18 op_sel_hi:[0,1]
	s_mov_b32 s19, 0x3bebb853
	v_sub_f16_e32 v39, v13, v18
	v_pk_add_f16 v3, v3, v11
	v_pk_fma_f16 v11, v36, s5, v29 op_sel_hi:[0,1,1] neg_lo:[0,0,1] neg_hi:[0,0,1]
	s_mov_b32 s7, 0xb08e3abb
	v_add_f16_e32 v38, v22, v25
	v_pk_mul_f16 v30, v39, s19 op_sel_hi:[0,1]
	s_mov_b32 s20, 0x3853ba0c
	v_sub_f16_e32 v41, v14, v19
	v_pk_add_f16 v3, v3, v11
	v_pk_fma_f16 v11, v38, s7, v30 op_sel_hi:[0,1,1] neg_lo:[0,0,1] neg_hi:[0,0,1]
	s_mov_b32 s10, 0x3abbb93d
	v_add_f16_e32 v40, v23, v24
	v_pk_mul_f16 v31, v41, s20 op_sel_hi:[0,1]
	s_mov_b32 s21, 0xba0cb482
	v_pk_add_f16 v3, v3, v11
	v_pk_fma_f16 v11, v40, s10, v31 op_sel_hi:[0,1,1] neg_lo:[0,0,1] neg_hi:[0,0,1]
	v_pk_mul_f16 v42, v35, s21 op_sel_hi:[0,1]
	s_mov_b32 s22, 0x3beb3853
	v_pk_add_f16 v11, v3, v11
	v_pk_fma_f16 v3, v34, s6, v42 op_sel_hi:[0,1,1] neg_lo:[0,0,1] neg_hi:[0,0,1]
	v_pk_mul_f16 v45, v33, s22 op_sel_hi:[0,1]
	v_pk_add_f16 v3, v0, v3 op_sel_hi:[0,1]
	v_pk_fma_f16 v43, v32, s7, v45 op_sel_hi:[0,1,1] neg_lo:[0,0,1] neg_hi:[0,0,1]
	s_mov_b32 s23, 0xb853ba0c
	v_pk_add_f16 v3, v3, v43
	v_pk_mul_f16 v43, v37, s23 op_sel_hi:[0,1]
	v_pk_fma_f16 v44, v36, s10, v43 op_sel_hi:[0,1,1] neg_lo:[0,0,1] neg_hi:[0,0,1]
	s_mov_b32 s24, 0xb4823b47
	v_pk_add_f16 v3, v3, v44
	v_pk_mul_f16 v44, v39, s24 op_sel_hi:[0,1]
	;; [unrolled: 4-line block ×3, first 2 shown]
	v_pk_fma_f16 v47, v40, s4, v46 op_sel_hi:[0,1,1] neg_lo:[0,0,1] neg_hi:[0,0,1]
	s_mov_b32 s11, 0x5040100
	v_pk_add_f16 v3, v3, v47
	s_and_saveexec_b64 s[2:3], s[0:1]
	s_cbranch_execz .LBB0_13
; %bb.12:
	v_pk_mul_f16 v62, v34, s6 op_sel_hi:[0,1]
	v_add_f16_e32 v42, v42, v62
	v_pk_mul_f16 v62, v32, s7 op_sel_hi:[0,1]
	v_add_f16_e32 v45, v45, v62
	v_add_f16_e32 v42, v0, v42
	;; [unrolled: 1-line block ×3, first 2 shown]
	v_pk_mul_f16 v45, v36, s10 op_sel_hi:[0,1]
	v_add_f16_e32 v43, v43, v45
	v_pk_mul_f16 v45, v38, s5 op_sel_hi:[0,1]
	v_add_f16_e32 v42, v42, v43
	;; [unrolled: 2-line block ×3, first 2 shown]
	v_pack_b32_f16 v49, v35, v35
	v_add_f16_e32 v42, v42, v44
	v_add_f16_e32 v43, v46, v43
	s_movk_i32 s26, 0x3abb
	v_mul_f16_e32 v35, 0xb853, v35
	v_pack_b32_f16 v47, v34, v34
	v_pk_mul_f16 v48, v34, s4 op_sel_hi:[0,1]
	v_pack_b32_f16 v53, v33, v33
	v_add_f16_e32 v42, v42, v43
	v_mul_f16_e32 v43, 0x3abb, v34
	v_fma_f16 v34, v34, s26, -v35
	s_movk_i32 s26, 0x36a6
	v_mul_f16_e32 v33, 0xbb47, v33
	v_pack_b32_f16 v51, v32, v32
	v_pk_mul_f16 v52, v32, s6 op_sel_hi:[0,1]
	v_pack_b32_f16 v56, v37, v37
	v_add_f16_e32 v34, v0, v34
	v_mul_f16_e32 v44, 0x36a6, v32
	v_fma_f16 v32, v32, s26, -v33
	s_mov_b32 s26, 0xb08e
	v_mul_f16_e32 v37, 0xbbeb, v37
	v_pack_b32_f16 v54, v36, v36
	v_pk_mul_f16 v55, v36, s5 op_sel_hi:[0,1]
	v_pack_b32_f16 v59, v39, v39
	v_add_f16_e32 v32, v34, v32
	v_mul_f16_e32 v34, 0xb08e, v36
	v_fma_f16 v36, v36, s26, -v37
	s_mov_b32 s26, 0xb93d
	;; [unrolled: 8-line block ×3, first 2 shown]
	v_mul_f16_e32 v41, 0xb482, v41
	v_pack_b32_f16 v60, v40, v40
	v_pk_mul_f16 v61, v40, s10 op_sel_hi:[0,1]
	v_add_f16_e32 v32, v32, v38
	v_mul_f16_e32 v38, 0xbbad, v40
	v_fma_f16 v40, v40, s26, -v41
	s_mov_b32 s26, 0xffff
	v_bfi_b32 v1, s26, v35, v1
	v_bfi_b32 v35, s26, v43, v48
	v_perm_b32 v50, v0, v0, s11
	v_pk_add_f16 v1, v1, v35
	v_bfi_b32 v2, s26, v33, v2
	v_bfi_b32 v33, s26, v44, v52
	v_pk_add_f16 v1, v50, v1
	v_pk_add_f16 v2, v2, v33
	;; [unrolled: 1-line block ×3, first 2 shown]
	v_bfi_b32 v2, s26, v37, v29
	v_bfi_b32 v29, s26, v34, v55
	v_pk_add_f16 v2, v2, v29
	v_pk_add_f16 v1, v1, v2
	v_bfi_b32 v2, s26, v39, v30
	v_bfi_b32 v29, s26, v36, v58
	v_pk_add_f16 v2, v2, v29
	v_pk_add_f16 v1, v1, v2
	v_bfi_b32 v2, s26, v41, v31
	v_bfi_b32 v29, s26, v38, v61
	v_pk_add_f16 v2, v2, v29
	s_mov_b32 s27, 0xb93db08e
	v_add_f16_e32 v0, v0, v7
	v_pk_add_f16 v29, v1, v2
	s_mov_b32 s26, 0xba0cbbeb
	v_pk_mul_f16 v1, v47, s27
	s_mov_b32 s27, 0xb08ebbad
	v_add_f16_e32 v0, v0, v20
	v_pk_fma_f16 v1, v49, s26, v1
	s_mov_b32 s26, 0x3beb3482
	v_pk_mul_f16 v2, v51, s27
	v_add_f16_e32 v0, v0, v21
	v_pk_add_f16 v1, v50, v1
	v_pk_fma_f16 v2, v53, s26, v2
	s_mov_b32 s27, 0x3abb36a6
	v_add_f16_e32 v0, v0, v22
	v_pk_add_f16 v1, v1, v2
	s_mov_b32 s26, 0xb8533b47
	v_pk_mul_f16 v2, v54, s27
	v_add_f16_e32 v0, v0, v23
	v_pk_fma_f16 v2, v56, s26, v2
	s_mov_b32 s27, 0xbbad3abb
	v_add_f16_e32 v0, v0, v24
	v_pk_add_f16 v1, v1, v2
	s_mov_b32 s26, 0xb482b853
	v_pk_mul_f16 v2, v57, s27
	v_add_f16_e32 v0, v25, v0
	;; [unrolled: 7-line block ×3, first 2 shown]
	v_pk_fma_f16 v2, v62, s26, v2
	v_add_f16_e32 v0, v28, v0
	v_pk_add_f16 v1, v1, v2
	v_add_f16_e32 v32, v32, v40
	v_mad_u32_u24 v40, v10, 22, 0
	v_alignbit_b32 v2, v42, v1, 16
	v_alignbit_b32 v1, v1, v29, 16
	v_pack_b32_f16 v0, v0, v29
	ds_write_b128 v40, v[0:3]
	ds_write_b32 v40, v11 offset:16
	ds_write_b16 v40, v32 offset:20
.LBB0_13:
	s_or_b64 exec, exec, s[2:3]
	v_sub_f16_e32 v44, v7, v28
	v_add_f16_e32 v43, v5, v15
	v_sub_f16_e32 v42, v20, v27
	v_pk_mul_f16 v34, v44, s16 op_sel_hi:[0,1]
	v_add_f16_e32 v41, v6, v16
	v_sub_f16_e32 v40, v21, v26
	v_pk_fma_f16 v0, v43, s4, v34 op_sel_hi:[0,1,1]
	v_pk_mul_f16 v32, v42, s17 op_sel_hi:[0,1]
	v_add_f16_e32 v39, v12, v17
	v_sub_f16_e32 v38, v22, v25
	v_pk_add_f16 v0, v4, v0 op_sel_hi:[0,1]
	v_pk_fma_f16 v1, v41, s6, v32 op_sel_hi:[0,1,1]
	v_pk_mul_f16 v30, v40, s18 op_sel_hi:[0,1]
	v_add_f16_e32 v37, v13, v18
	v_sub_f16_e32 v36, v23, v24
	v_pk_add_f16 v0, v0, v1
	v_pk_fma_f16 v1, v39, s5, v30 op_sel_hi:[0,1,1]
	v_pk_mul_f16 v28, v38, s19 op_sel_hi:[0,1]
	v_add_f16_e32 v35, v14, v19
	v_pk_add_f16 v0, v0, v1
	v_pk_fma_f16 v1, v37, s7, v28 op_sel_hi:[0,1,1]
	v_pk_mul_f16 v26, v36, s20 op_sel_hi:[0,1]
	v_pk_add_f16 v0, v0, v1
	v_pk_fma_f16 v1, v35, s10, v26 op_sel_hi:[0,1,1]
	v_pk_mul_f16 v27, v44, s21 op_sel_hi:[0,1]
	;; [unrolled: 3-line block ×3, first 2 shown]
	v_pk_add_f16 v1, v4, v1 op_sel_hi:[0,1]
	v_pk_fma_f16 v2, v41, s7, v29 op_sel_hi:[0,1,1]
	v_pk_mul_f16 v31, v40, s23 op_sel_hi:[0,1]
	v_pk_add_f16 v1, v1, v2
	v_pk_fma_f16 v2, v39, s10, v31 op_sel_hi:[0,1,1]
	v_pk_mul_f16 v33, v38, s24 op_sel_hi:[0,1]
	v_pk_add_f16 v1, v1, v2
	v_pk_fma_f16 v2, v37, s5, v33 op_sel_hi:[0,1,1]
	v_pk_add_f16 v7, v1, v2
	v_lshl_add_u32 v1, v10, 1, 0
	s_waitcnt lgkmcnt(0)
	s_barrier
	ds_read_u16 v2, v1
	ds_read_u16 v24, v1 offset:220
	ds_read_u16 v23, v1 offset:440
	;; [unrolled: 1-line block ×5, first 2 shown]
	v_pk_mul_f16 v25, v36, s25 op_sel_hi:[0,1]
	v_pk_fma_f16 v45, v35, s4, v25 op_sel_hi:[0,1,1]
	v_pk_add_f16 v7, v7, v45
	s_waitcnt lgkmcnt(0)
	s_barrier
	s_and_saveexec_b64 s[2:3], s[0:1]
	s_cbranch_execz .LBB0_15
; %bb.14:
	v_add_f16_e32 v5, v4, v5
	v_add_f16_e32 v5, v5, v6
	;; [unrolled: 1-line block ×9, first 2 shown]
	s_movk_i32 s0, 0x3abb
	v_mul_f16_e32 v16, 0xb853, v44
	v_pack_b32_f16 v51, v42, v42
	v_fma_f16 v17, v43, s0, v16
	s_movk_i32 s0, 0x36a6
	v_mul_f16_e32 v42, 0xbb47, v42
	v_pack_b32_f16 v45, v43, v43
	v_pk_mul_f16 v46, v43, s4 op_sel_hi:[0,1]
	v_pack_b32_f16 v49, v41, v41
	v_pk_mul_f16 v50, v41, s6 op_sel_hi:[0,1]
	;; [unrolled: 2-line block ×3, first 2 shown]
	v_pk_mul_f16 v13, v41, s7 op_sel_hi:[0,1]
	v_add_f16_e32 v15, v15, v5
	v_mul_f16_e32 v5, 0x3abb, v43
	v_add_f16_e32 v17, v4, v17
	v_mul_f16_e32 v43, 0x36a6, v41
	v_fma_f16 v41, v41, s0, v42
	s_mov_b32 s0, 0xb08e
	v_mul_f16_e32 v40, 0xbbeb, v40
	v_pack_b32_f16 v52, v39, v39
	v_pk_mul_f16 v53, v39, s5 op_sel_hi:[0,1]
	v_pack_b32_f16 v57, v38, v38
	v_pk_mul_f16 v14, v39, s10 op_sel_hi:[0,1]
	v_add_f16_e32 v17, v17, v41
	v_mul_f16_e32 v41, 0xb08e, v39
	v_fma_f16 v39, v39, s0, v40
	s_mov_b32 s0, 0xb93d
	v_mul_f16_e32 v38, 0xba0c, v38
	v_pack_b32_f16 v55, v37, v37
	v_pk_mul_f16 v56, v37, s7 op_sel_hi:[0,1]
	v_pack_b32_f16 v6, v36, v36
	v_pk_mul_f16 v19, v37, s5 op_sel_hi:[0,1]
	v_add_f16_e32 v17, v17, v39
	v_mul_f16_e32 v39, 0xb93d, v37
	v_fma_f16 v37, v37, s0, v38
	s_mov_b32 s0, 0xbbad
	v_mul_f16_e32 v36, 0xb482, v36
	v_pack_b32_f16 v58, v35, v35
	v_pk_mul_f16 v59, v35, s10 op_sel_hi:[0,1]
	v_pk_mul_f16 v18, v35, s4 op_sel_hi:[0,1]
	v_add_f16_e32 v17, v17, v37
	v_mul_f16_e32 v37, 0xbbad, v35
	v_fma_f16 v35, v35, s0, v36
	s_mov_b32 s0, 0xffff
	v_bfi_b32 v5, s0, v5, v46
	v_bfi_b32 v16, s0, v16, v34
	v_perm_b32 v48, v4, v4, s11
	v_pk_add_f16 v5, v5, v16 neg_lo:[0,1] neg_hi:[0,1]
	v_bfi_b32 v16, s0, v43, v50
	v_bfi_b32 v32, s0, v42, v32
	v_pk_add_f16 v5, v48, v5
	v_pk_add_f16 v16, v16, v32 neg_lo:[0,1] neg_hi:[0,1]
	v_pk_add_f16 v5, v5, v16
	v_bfi_b32 v16, s0, v41, v53
	v_bfi_b32 v30, s0, v40, v30
	v_pk_add_f16 v16, v16, v30 neg_lo:[0,1] neg_hi:[0,1]
	v_pk_add_f16 v5, v5, v16
	v_bfi_b32 v16, s0, v39, v56
	v_bfi_b32 v28, s0, v38, v28
	;; [unrolled: 4-line block ×3, first 2 shown]
	v_pk_add_f16 v16, v16, v26 neg_lo:[0,1] neg_hi:[0,1]
	v_pk_add_f16 v16, v5, v16
	v_sub_f16_e32 v5, v12, v27
	v_add_f16_e32 v4, v4, v5
	v_sub_f16_e32 v5, v13, v29
	v_add_f16_e32 v4, v4, v5
	v_sub_f16_e32 v5, v14, v31
	v_pack_b32_f16 v47, v44, v44
	v_add_f16_e32 v4, v4, v5
	v_sub_f16_e32 v5, v19, v33
	s_mov_b32 s1, 0x3a0c3beb
	v_add_f16_e32 v4, v4, v5
	s_mov_b32 s0, 0xb93db08e
	v_pk_mul_f16 v5, v47, s1
	s_mov_b32 s1, 0xbbebb482
	v_pk_fma_f16 v5, v45, s0, v5
	s_mov_b32 s0, 0xb08ebbad
	v_pk_mul_f16 v12, v51, s1
	v_pk_add_f16 v5, v48, v5
	v_pk_fma_f16 v12, v49, s0, v12
	s_mov_b32 s1, 0x3853bb47
	v_pk_add_f16 v5, v5, v12
	s_mov_b32 s0, 0x3abb36a6
	v_pk_mul_f16 v12, v54, s1
	v_pk_fma_f16 v12, v52, s0, v12
	s_mov_b32 s1, 0x34823853
	v_pk_add_f16 v5, v5, v12
	s_mov_b32 s0, 0xbbad3abb
	v_pk_mul_f16 v12, v57, s1
	s_mov_b32 s1, 0xbb473a0c
	v_pk_fma_f16 v12, v55, s0, v12
	s_mov_b32 s0, 0x36a6b93d
	v_pk_mul_f16 v6, v6, s1
	v_pk_add_f16 v5, v5, v12
	v_pk_fma_f16 v6, v58, s0, v6
	v_pk_add_f16 v5, v5, v6
	v_sub_f16_e32 v6, v18, v25
	v_add_f16_e32 v4, v4, v6
	v_mad_u32_u24 v12, v10, 20, v1
	v_alignbit_b32 v6, v4, v5, 16
	v_alignbit_b32 v5, v5, v16, 16
	v_pack_b32_f16 v4, v15, v16
	v_add_f16_e32 v17, v17, v35
	ds_write_b128 v12, v[4:7]
	ds_write_b32 v12, v0 offset:16
	ds_write_b16 v12, v17 offset:20
.LBB0_15:
	s_or_b64 exec, exec, s[2:3]
	s_movk_i32 s0, 0x75
	v_mul_lo_u16_sdwa v4, v10, s0 dst_sel:DWORD dst_unused:UNUSED_PAD src0_sel:BYTE_0 src1_sel:DWORD
	v_sub_u16_sdwa v5, v10, v4 dst_sel:DWORD dst_unused:UNUSED_PAD src0_sel:DWORD src1_sel:BYTE_1
	v_lshrrev_b16_e32 v5, 1, v5
	v_and_b32_e32 v5, 0x7f, v5
	v_add_u16_sdwa v4, v5, v4 dst_sel:DWORD dst_unused:UNUSED_PAD src0_sel:DWORD src1_sel:BYTE_1
	v_lshrrev_b16_e32 v5, 3, v4
	v_mul_lo_u16_e32 v4, 11, v5
	v_sub_u16_e32 v6, v10, v4
	v_mov_b32_e32 v4, 5
	v_mul_u32_u24_sdwa v4, v6, v4 dst_sel:DWORD dst_unused:UNUSED_PAD src0_sel:BYTE_0 src1_sel:DWORD
	v_lshlrev_b32_e32 v4, 2, v4
	s_waitcnt lgkmcnt(0)
	s_barrier
	global_load_dwordx4 v[26:29], v4, s[8:9]
	global_load_dword v12, v4, s[8:9] offset:16
	ds_read_u16 v4, v1
	ds_read_u16 v13, v1 offset:220
	ds_read_u16 v14, v1 offset:440
	;; [unrolled: 1-line block ×5, first 2 shown]
	v_mov_b32_e32 v15, 1
	v_mul_u32_u24_e32 v5, 0x84, v5
	v_lshlrev_b32_sdwa v6, v15, v6 dst_sel:DWORD dst_unused:UNUSED_PAD src0_sel:DWORD src1_sel:BYTE_0
	v_add3_u32 v25, 0, v5, v6
	s_mov_b32 s5, 0xbaee
	s_movk_i32 s4, 0x3aee
	s_movk_i32 s0, 0x42
	v_cmp_gt_u32_e64 s[0:1], s0, v10
	s_waitcnt vmcnt(0) lgkmcnt(0)
	s_barrier
	v_mul_f16_sdwa v6, v24, v26 dst_sel:DWORD dst_unused:UNUSED_PAD src0_sel:DWORD src1_sel:WORD_1
	v_mul_f16_sdwa v16, v14, v27 dst_sel:DWORD dst_unused:UNUSED_PAD src0_sel:DWORD src1_sel:WORD_1
	;; [unrolled: 1-line block ×10, first 2 shown]
	v_fma_f16 v15, v13, v26, -v6
	v_fma_f16 v16, v23, v27, v16
	v_fma_f16 v6, v22, v28, v31
	v_fma_f16 v17, v17, v28, -v32
	v_fma_f16 v21, v21, v29, v33
	v_fma_f16 v22, v19, v29, -v34
	;; [unrolled: 2-line block ×4, first 2 shown]
	v_add_f16_e32 v14, v16, v21
	v_add_f16_e32 v24, v6, v13
	;; [unrolled: 1-line block ×4, first 2 shown]
	v_sub_f16_e32 v20, v18, v22
	v_add_f16_e32 v23, v5, v6
	v_sub_f16_e32 v26, v17, v19
	v_sub_f16_e32 v6, v6, v13
	v_fma_f16 v2, v14, -0.5, v2
	v_fma_f16 v5, v24, -0.5, v5
	;; [unrolled: 1-line block ×3, first 2 shown]
	v_add_f16_e32 v12, v12, v21
	v_add_f16_e32 v13, v23, v13
	v_fma_f16 v27, v20, s5, v2
	v_fma_f16 v28, v20, s4, v2
	;; [unrolled: 1-line block ×6, first 2 shown]
	v_add_f16_e32 v2, v12, v13
	v_sub_f16_e32 v5, v12, v13
	v_mul_f16_e32 v6, 0xbaee, v26
	v_mul_f16_e32 v12, 0xbaee, v24
	v_fma_f16 v13, v23, 0.5, v6
	v_fma_f16 v29, v20, -0.5, v12
	v_add_f16_e32 v6, v27, v13
	v_add_f16_e32 v12, v28, v29
	v_sub_f16_e32 v14, v27, v13
	v_sub_f16_e32 v13, v28, v29
	ds_write_b16 v25, v2
	ds_write_b16 v25, v5 offset:66
	ds_write_b16 v25, v6 offset:22
	;; [unrolled: 1-line block ×5, first 2 shown]
	s_waitcnt lgkmcnt(0)
	s_barrier
	s_and_saveexec_b64 s[2:3], s[0:1]
	s_cbranch_execz .LBB0_17
; %bb.16:
	ds_read_u16 v3, v1 offset:792
	ds_read_u16 v27, v1 offset:924
	;; [unrolled: 1-line block ×4, first 2 shown]
	ds_read_u16 v2, v1
	ds_read_u16 v6, v1 offset:132
	ds_read_u16 v12, v1 offset:264
	;; [unrolled: 1-line block ×5, first 2 shown]
	s_mov_b32 s6, 0x5040100
	s_waitcnt lgkmcnt(6)
	v_perm_b32 v11, v28, v11, s6
	v_perm_b32 v3, v27, v3, s6
.LBB0_17:
	s_or_b64 exec, exec, s[2:3]
	v_add_f16_e32 v27, v4, v18
	v_add_f16_e32 v18, v18, v22
	v_fma_f16 v4, v18, -0.5, v4
	v_sub_f16_e32 v16, v16, v21
	v_add_f16_e32 v27, v27, v22
	v_fma_f16 v21, v16, s4, v4
	v_fma_f16 v22, v16, s5, v4
	v_add_f16_e32 v4, v15, v17
	v_mul_f16_e32 v15, 0.5, v26
	v_mul_f16_e32 v18, -0.5, v24
	v_add_f16_e32 v16, v4, v19
	v_fma_f16 v17, v23, s4, v15
	v_fma_f16 v20, v20, s4, v18
	v_add_f16_e32 v4, v27, v16
	v_add_f16_e32 v15, v21, v17
	;; [unrolled: 1-line block ×3, first 2 shown]
	v_sub_f16_e32 v16, v27, v16
	v_sub_f16_e32 v19, v21, v17
	;; [unrolled: 1-line block ×3, first 2 shown]
	s_waitcnt lgkmcnt(0)
	s_barrier
	ds_write_b16 v25, v4
	ds_write_b16 v25, v15 offset:22
	ds_write_b16 v25, v18 offset:44
	;; [unrolled: 1-line block ×5, first 2 shown]
	s_waitcnt lgkmcnt(0)
	s_barrier
	s_and_saveexec_b64 s[2:3], s[0:1]
	s_cbranch_execnz .LBB0_20
; %bb.18:
	s_or_b64 exec, exec, s[2:3]
	s_and_b64 s[0:1], vcc, s[0:1]
	s_and_saveexec_b64 s[2:3], s[0:1]
	s_cbranch_execnz .LBB0_21
.LBB0_19:
	s_endpgm
.LBB0_20:
	ds_read_u16 v7, v1 offset:792
	ds_read_u16 v20, v1 offset:924
	;; [unrolled: 1-line block ×4, first 2 shown]
	ds_read_u16 v4, v1
	ds_read_u16 v15, v1 offset:132
	ds_read_u16 v18, v1 offset:264
	ds_read_u16 v16, v1 offset:396
	ds_read_u16 v19, v1 offset:528
	ds_read_u16 v17, v1 offset:660
	s_mov_b32 s4, 0x5040100
	s_waitcnt lgkmcnt(6)
	v_perm_b32 v0, v21, v0, s4
	v_perm_b32 v7, v20, v7, s4
	s_or_b64 exec, exec, s[2:3]
	s_and_b64 s[0:1], vcc, s[0:1]
	s_and_saveexec_b64 s[2:3], s[0:1]
	s_cbranch_execz .LBB0_19
.LBB0_21:
	v_mul_u32_u24_e32 v1, 9, v10
	v_lshlrev_b32_e32 v1, 2, v1
	global_load_dwordx4 v[20:23], v1, s[8:9] offset:220
	global_load_dwordx4 v[24:27], v1, s[8:9] offset:236
	global_load_dword v28, v1, s[8:9] offset:252
	v_lshrrev_b32_e32 v29, 16, v0
	v_lshrrev_b32_e32 v30, 16, v3
	;; [unrolled: 1-line block ×4, first 2 shown]
	s_mov_b32 s0, 0xbb9c
	s_movk_i32 s3, 0x3b9c
	s_mov_b32 s1, 0xb8b4
	s_movk_i32 s4, 0x38b4
	s_movk_i32 s2, 0x34f2
	;; [unrolled: 1-line block ×3, first 2 shown]
	v_add_co_u32_e32 v8, vcc, s14, v8
	s_mov_b32 s5, 0xba79
	s_mov_b32 s6, 0xb4f2
	s_waitcnt vmcnt(2)
	v_mul_f16_sdwa v32, v12, v21 dst_sel:DWORD dst_unused:UNUSED_PAD src0_sel:DWORD src1_sel:WORD_1
	v_mul_f16_sdwa v33, v14, v23 dst_sel:DWORD dst_unused:UNUSED_PAD src0_sel:DWORD src1_sel:WORD_1
	s_waitcnt vmcnt(1)
	v_mul_f16_sdwa v34, v11, v27 dst_sel:DWORD dst_unused:UNUSED_PAD src0_sel:DWORD src1_sel:WORD_1
	v_mul_f16_sdwa v35, v3, v25 dst_sel:DWORD dst_unused:UNUSED_PAD src0_sel:DWORD src1_sel:WORD_1
	s_waitcnt lgkmcnt(3)
	v_mul_f16_sdwa v36, v18, v21 dst_sel:DWORD dst_unused:UNUSED_PAD src0_sel:DWORD src1_sel:WORD_1
	v_mul_f16_sdwa v37, v0, v27 dst_sel:DWORD dst_unused:UNUSED_PAD src0_sel:DWORD src1_sel:WORD_1
	s_waitcnt lgkmcnt(1)
	v_mul_f16_sdwa v38, v19, v23 dst_sel:DWORD dst_unused:UNUSED_PAD src0_sel:DWORD src1_sel:WORD_1
	v_mul_f16_sdwa v39, v7, v25 dst_sel:DWORD dst_unused:UNUSED_PAD src0_sel:DWORD src1_sel:WORD_1
	;; [unrolled: 1-line block ×3, first 2 shown]
	s_waitcnt lgkmcnt(0)
	v_mul_f16_sdwa v41, v17, v24 dst_sel:DWORD dst_unused:UNUSED_PAD src0_sel:DWORD src1_sel:WORD_1
	s_waitcnt vmcnt(0)
	v_mul_f16_sdwa v42, v29, v28 dst_sel:DWORD dst_unused:UNUSED_PAD src0_sel:DWORD src1_sel:WORD_1
	v_mul_f16_sdwa v43, v31, v26 dst_sel:DWORD dst_unused:UNUSED_PAD src0_sel:DWORD src1_sel:WORD_1
	v_mul_f16_sdwa v44, v15, v20 dst_sel:DWORD dst_unused:UNUSED_PAD src0_sel:DWORD src1_sel:WORD_1
	v_mul_f16_sdwa v47, v13, v24 dst_sel:DWORD dst_unused:UNUSED_PAD src0_sel:DWORD src1_sel:WORD_1
	v_mul_f16_sdwa v48, v30, v26 dst_sel:DWORD dst_unused:UNUSED_PAD src0_sel:DWORD src1_sel:WORD_1
	v_mul_f16_sdwa v49, v6, v20 dst_sel:DWORD dst_unused:UNUSED_PAD src0_sel:DWORD src1_sel:WORD_1
	v_fma_f16 v18, v18, v21, -v32
	v_fma_f16 v19, v19, v23, -v33
	;; [unrolled: 1-line block ×4, first 2 shown]
	v_mul_f16_sdwa v45, v5, v22 dst_sel:DWORD dst_unused:UNUSED_PAD src0_sel:DWORD src1_sel:WORD_1
	v_mul_f16_sdwa v46, v1, v28 dst_sel:DWORD dst_unused:UNUSED_PAD src0_sel:DWORD src1_sel:WORD_1
	v_fma_f16 v12, v12, v21, v36
	v_fma_f16 v11, v11, v27, v37
	;; [unrolled: 1-line block ×9, first 2 shown]
	v_fma_f16 v17, v17, v24, -v47
	v_fma_f16 v23, v31, v26, -v48
	;; [unrolled: 1-line block ×3, first 2 shown]
	v_sub_f16_e32 v20, v18, v19
	v_sub_f16_e32 v24, v0, v7
	v_add_f16_e32 v25, v19, v7
	v_fma_f16 v16, v16, v22, -v45
	v_fma_f16 v22, v29, v28, -v46
	v_sub_f16_e32 v26, v12, v11
	v_sub_f16_e32 v28, v5, v13
	;; [unrolled: 1-line block ×3, first 2 shown]
	v_add_f16_e32 v30, v13, v21
	v_add_f16_e32 v35, v17, v23
	;; [unrolled: 1-line block ×3, first 2 shown]
	v_fma_f16 v24, v25, -0.5, v4
	v_sub_f16_e32 v27, v14, v3
	v_add_f16_e32 v25, v28, v29
	v_fma_f16 v28, v30, -0.5, v6
	v_fma_f16 v30, v35, -0.5, v15
	v_fma_f16 v35, v26, s0, v24
	v_fma_f16 v24, v26, s3, v24
	v_sub_f16_e32 v31, v16, v22
	v_sub_f16_e32 v33, v16, v17
	;; [unrolled: 1-line block ×5, first 2 shown]
	v_fma_f16 v35, v27, s1, v35
	v_fma_f16 v24, v27, s4, v24
	v_sub_f16_e32 v32, v17, v23
	v_add_f16_e32 v29, v33, v34
	v_add_f16_e32 v33, v38, v39
	v_fma_f16 v38, v31, s3, v28
	v_fma_f16 v35, v20, s2, v35
	v_sub_f16_e32 v46, v17, v16
	v_sub_f16_e32 v47, v23, v22
	v_fma_f16 v20, v20, s2, v24
	v_fma_f16 v24, v31, s0, v28
	v_sub_f16_e32 v36, v5, v1
	v_fma_f16 v38, v32, s4, v38
	v_add_f16_e32 v46, v46, v47
	v_add_f16_e32 v47, v16, v22
	v_fma_f16 v24, v32, s1, v24
	v_sub_f16_e32 v37, v13, v21
	v_fma_f16 v39, v36, s0, v30
	v_fma_f16 v38, v25, s2, v38
	v_fma_f16 v47, v47, -0.5, v15
	v_fma_f16 v24, v25, s2, v24
	v_fma_f16 v25, v36, s3, v30
	v_add_f16_e32 v15, v16, v15
	v_add_f16_e32 v40, v18, v0
	v_fma_f16 v39, v37, s1, v39
	v_fma_f16 v25, v37, s4, v25
	v_add_f16_e32 v15, v17, v15
	v_fma_f16 v34, v40, -0.5, v4
	v_fma_f16 v39, v29, s2, v39
	v_fma_f16 v25, v29, s2, v25
	v_add_f16_e32 v4, v4, v18
	v_add_f16_e32 v15, v23, v15
	v_sub_f16_e32 v28, v14, v12
	v_sub_f16_e32 v29, v3, v11
	v_add_f16_e32 v4, v4, v19
	v_add_f16_e32 v15, v22, v15
	v_sub_f16_e32 v17, v12, v14
	v_sub_f16_e32 v22, v11, v3
	v_add_f16_e32 v28, v28, v29
	v_add_f16_e32 v29, v12, v11
	;; [unrolled: 1-line block ×5, first 2 shown]
	v_sub_f16_e32 v7, v19, v7
	v_fma_f16 v29, v29, -0.5, v2
	v_add_f16_e32 v4, v0, v4
	v_fma_f16 v22, v22, -0.5, v2
	v_sub_f16_e32 v0, v18, v0
	v_fma_f16 v30, v7, s0, v29
	v_fma_f16 v29, v7, s3, v29
	;; [unrolled: 1-line block ×9, first 2 shown]
	v_mul_f16_e32 v0, 0xb8b4, v25
	v_fma_f16 v18, v17, s2, v18
	v_fma_f16 v17, v24, s7, v0
	v_add_f16_e32 v0, v2, v12
	v_sub_f16_e32 v43, v13, v5
	v_sub_f16_e32 v44, v21, v1
	v_add_f16_e32 v0, v0, v14
	v_fma_f16 v40, v27, s3, v34
	v_add_f16_e32 v43, v43, v44
	v_add_f16_e32 v44, v5, v1
	v_fma_f16 v34, v27, s0, v34
	v_add_f16_e32 v0, v0, v3
	v_fma_f16 v40, v26, s1, v40
	v_fma_f16 v44, v44, -0.5, v6
	v_fma_f16 v34, v26, s4, v34
	v_add_f16_e32 v3, v11, v0
	v_add_f16_e32 v0, v5, v6
	v_fma_f16 v40, v33, s2, v40
	v_fma_f16 v45, v32, s0, v44
	;; [unrolled: 1-line block ×4, first 2 shown]
	v_add_f16_e32 v0, v13, v0
	v_fma_f16 v45, v31, s4, v45
	v_fma_f16 v48, v37, s3, v47
	;; [unrolled: 1-line block ×3, first 2 shown]
	v_add_f16_e32 v0, v21, v0
	v_fma_f16 v45, v43, s2, v45
	v_fma_f16 v48, v36, s1, v48
	;; [unrolled: 1-line block ×4, first 2 shown]
	v_add_f16_e32 v5, v1, v0
	v_mad_u64_u32 v[0:1], s[0:1], s12, v10, 0
	v_sub_f16_e32 v22, v7, v17
	v_add_f16_e32 v7, v7, v17
	v_mad_u64_u32 v[1:2], s[0:1], s13, v10, v[1:2]
	v_add_u32_e32 v17, 0x42, v10
	v_sub_f16_e32 v6, v3, v5
	v_add_f16_e32 v5, v3, v5
	v_mad_u64_u32 v[2:3], s[0:1], s12, v17, 0
	v_sub_f16_e32 v16, v4, v15
	v_add_f16_e32 v15, v4, v15
	v_mov_b32_e32 v4, s15
	v_lshlrev_b64 v[0:1], 2, v[0:1]
	v_addc_co_u32_e32 v9, vcc, v4, v9, vcc
	v_mad_u64_u32 v[3:4], s[0:1], s13, v17, v[3:4]
	v_add_co_u32_e32 v0, vcc, v8, v0
	v_addc_co_u32_e32 v1, vcc, v9, v1, vcc
	v_pack_b32_f16 v4, v5, v15
	global_store_dword v[0:1], v4, off
	v_add_u32_e32 v4, 0x84, v10
	v_lshlrev_b64 v[0:1], 2, v[2:3]
	v_mad_u64_u32 v[2:3], s[0:1], s12, v4, 0
	v_mul_f16_e32 v26, 0x3a79, v25
	v_fma_f16 v26, v24, s4, v26
	v_add_f16_e32 v14, v20, v26
	v_pack_b32_f16 v7, v7, v14
	v_mad_u64_u32 v[3:4], s[0:1], s13, v4, v[3:4]
	v_add_u32_e32 v14, 0xc6, v10
	v_mad_u64_u32 v[4:5], s[0:1], s12, v14, 0
	v_add_co_u32_e32 v0, vcc, v8, v0
	v_addc_co_u32_e32 v1, vcc, v9, v1, vcc
	v_fma_f16 v43, v36, s4, v43
	global_store_dword v[0:1], v7, off
	v_lshlrev_b64 v[0:1], 2, v[2:3]
	v_mov_b32_e32 v2, v5
	v_fma_f16 v43, v46, s2, v43
	v_mad_u64_u32 v[2:3], s[0:1], s13, v14, v[2:3]
	v_mul_f16_e32 v44, 0x34f2, v43
	v_fma_f16 v30, v28, s2, v30
	v_fma_f16 v28, v28, s2, v29
	v_mul_f16_e32 v29, 0xbb9c, v43
	v_fma_f16 v44, v34, s3, v44
	v_fma_f16 v29, v34, s2, v29
	v_sub_f16_e32 v27, v20, v26
	v_add_f16_e32 v13, v33, v44
	v_add_f16_e32 v20, v28, v29
	v_add_co_u32_e32 v0, vcc, v8, v0
	v_addc_co_u32_e32 v1, vcc, v9, v1, vcc
	v_pack_b32_f16 v3, v20, v13
	v_mov_b32_e32 v5, v2
	global_store_dword v[0:1], v3, off
	v_lshlrev_b64 v[0:1], 2, v[4:5]
	v_add_u32_e32 v4, 0x108, v10
	v_fma_f16 v48, v46, s2, v48
	v_mad_u64_u32 v[2:3], s[0:1], s12, v4, 0
	v_mul_f16_e32 v49, 0xb4f2, v48
	v_mul_f16_e32 v19, 0xb8b4, v39
	;; [unrolled: 1-line block ×3, first 2 shown]
	v_fma_f16 v49, v45, s3, v49
	v_fma_f16 v19, v38, s5, v19
	;; [unrolled: 1-line block ×3, first 2 shown]
	v_sub_f16_e32 v23, v18, v19
	v_add_f16_e32 v12, v40, v49
	v_add_f16_e32 v18, v18, v19
	;; [unrolled: 1-line block ×3, first 2 shown]
	v_pack_b32_f16 v7, v19, v12
	v_mad_u64_u32 v[3:4], s[0:1], s13, v4, v[3:4]
	v_add_u32_e32 v12, 0x14a, v10
	v_mad_u64_u32 v[4:5], s[0:1], s12, v12, 0
	v_add_co_u32_e32 v0, vcc, v8, v0
	v_addc_co_u32_e32 v1, vcc, v9, v1, vcc
	global_store_dword v[0:1], v7, off
	v_lshlrev_b64 v[0:1], 2, v[2:3]
	v_mov_b32_e32 v2, v5
	v_mad_u64_u32 v[2:3], s[0:1], s13, v12, v[2:3]
	v_mul_f16_e32 v41, 0xba79, v39
	v_fma_f16 v41, v38, s4, v41
	v_add_f16_e32 v11, v35, v41
	v_add_co_u32_e32 v0, vcc, v8, v0
	v_addc_co_u32_e32 v1, vcc, v9, v1, vcc
	v_pack_b32_f16 v3, v18, v11
	v_mov_b32_e32 v5, v2
	global_store_dword v[0:1], v3, off
	v_lshlrev_b64 v[0:1], 2, v[4:5]
	v_add_u32_e32 v4, 0x18c, v10
	v_mad_u64_u32 v[2:3], s[0:1], s12, v4, 0
	v_add_u32_e32 v7, 0x1ce, v10
	v_add_co_u32_e32 v0, vcc, v8, v0
	v_mad_u64_u32 v[3:4], s[0:1], s13, v4, v[3:4]
	v_mad_u64_u32 v[4:5], s[0:1], s12, v7, 0
	v_addc_co_u32_e32 v1, vcc, v9, v1, vcc
	v_pack_b32_f16 v6, v6, v16
	global_store_dword v[0:1], v6, off
	v_lshlrev_b64 v[0:1], 2, v[2:3]
	v_mov_b32_e32 v2, v5
	v_mad_u64_u32 v[2:3], s[0:1], s13, v7, v[2:3]
	v_add_co_u32_e32 v0, vcc, v8, v0
	v_addc_co_u32_e32 v1, vcc, v9, v1, vcc
	v_pack_b32_f16 v3, v22, v27
	v_mov_b32_e32 v5, v2
	global_store_dword v[0:1], v3, off
	v_lshlrev_b64 v[0:1], 2, v[4:5]
	v_add_u32_e32 v4, 0x210, v10
	v_mad_u64_u32 v[2:3], s[0:1], s12, v4, 0
	v_add_u32_e32 v7, 0x252, v10
	v_sub_f16_e32 v46, v33, v44
	v_mad_u64_u32 v[3:4], s[0:1], s13, v4, v[3:4]
	v_mad_u64_u32 v[4:5], s[0:1], s12, v7, 0
	v_sub_f16_e32 v34, v28, v29
	v_add_co_u32_e32 v0, vcc, v8, v0
	v_addc_co_u32_e32 v1, vcc, v9, v1, vcc
	v_pack_b32_f16 v6, v34, v46
	global_store_dword v[0:1], v6, off
	v_lshlrev_b64 v[0:1], 2, v[2:3]
	v_mov_b32_e32 v2, v5
	v_mad_u64_u32 v[2:3], s[0:1], s13, v7, v[2:3]
	v_sub_f16_e32 v50, v40, v49
	v_sub_f16_e32 v32, v30, v31
	v_add_co_u32_e32 v0, vcc, v8, v0
	v_addc_co_u32_e32 v1, vcc, v9, v1, vcc
	v_pack_b32_f16 v3, v32, v50
	v_mov_b32_e32 v5, v2
	global_store_dword v[0:1], v3, off
	v_lshlrev_b64 v[0:1], 2, v[4:5]
	v_sub_f16_e32 v42, v35, v41
	v_add_co_u32_e32 v0, vcc, v8, v0
	v_addc_co_u32_e32 v1, vcc, v9, v1, vcc
	v_pack_b32_f16 v2, v23, v42
	global_store_dword v[0:1], v2, off
	s_endpgm
	.section	.rodata,"a",@progbits
	.p2align	6, 0x0
	.amdhsa_kernel fft_rtc_back_len660_factors_11_6_10_wgs_110_tpt_110_halfLds_half_ip_CI_sbrr_dirReg
		.amdhsa_group_segment_fixed_size 0
		.amdhsa_private_segment_fixed_size 0
		.amdhsa_kernarg_size 88
		.amdhsa_user_sgpr_count 6
		.amdhsa_user_sgpr_private_segment_buffer 1
		.amdhsa_user_sgpr_dispatch_ptr 0
		.amdhsa_user_sgpr_queue_ptr 0
		.amdhsa_user_sgpr_kernarg_segment_ptr 1
		.amdhsa_user_sgpr_dispatch_id 0
		.amdhsa_user_sgpr_flat_scratch_init 0
		.amdhsa_user_sgpr_private_segment_size 0
		.amdhsa_uses_dynamic_stack 0
		.amdhsa_system_sgpr_private_segment_wavefront_offset 0
		.amdhsa_system_sgpr_workgroup_id_x 1
		.amdhsa_system_sgpr_workgroup_id_y 0
		.amdhsa_system_sgpr_workgroup_id_z 0
		.amdhsa_system_sgpr_workgroup_info 0
		.amdhsa_system_vgpr_workitem_id 0
		.amdhsa_next_free_vgpr 63
		.amdhsa_next_free_sgpr 28
		.amdhsa_reserve_vcc 1
		.amdhsa_reserve_flat_scratch 0
		.amdhsa_float_round_mode_32 0
		.amdhsa_float_round_mode_16_64 0
		.amdhsa_float_denorm_mode_32 3
		.amdhsa_float_denorm_mode_16_64 3
		.amdhsa_dx10_clamp 1
		.amdhsa_ieee_mode 1
		.amdhsa_fp16_overflow 0
		.amdhsa_exception_fp_ieee_invalid_op 0
		.amdhsa_exception_fp_denorm_src 0
		.amdhsa_exception_fp_ieee_div_zero 0
		.amdhsa_exception_fp_ieee_overflow 0
		.amdhsa_exception_fp_ieee_underflow 0
		.amdhsa_exception_fp_ieee_inexact 0
		.amdhsa_exception_int_div_zero 0
	.end_amdhsa_kernel
	.text
.Lfunc_end0:
	.size	fft_rtc_back_len660_factors_11_6_10_wgs_110_tpt_110_halfLds_half_ip_CI_sbrr_dirReg, .Lfunc_end0-fft_rtc_back_len660_factors_11_6_10_wgs_110_tpt_110_halfLds_half_ip_CI_sbrr_dirReg
                                        ; -- End function
	.section	.AMDGPU.csdata,"",@progbits
; Kernel info:
; codeLenInByte = 7304
; NumSgprs: 32
; NumVgprs: 63
; ScratchSize: 0
; MemoryBound: 0
; FloatMode: 240
; IeeeMode: 1
; LDSByteSize: 0 bytes/workgroup (compile time only)
; SGPRBlocks: 3
; VGPRBlocks: 15
; NumSGPRsForWavesPerEU: 32
; NumVGPRsForWavesPerEU: 63
; Occupancy: 4
; WaveLimiterHint : 1
; COMPUTE_PGM_RSRC2:SCRATCH_EN: 0
; COMPUTE_PGM_RSRC2:USER_SGPR: 6
; COMPUTE_PGM_RSRC2:TRAP_HANDLER: 0
; COMPUTE_PGM_RSRC2:TGID_X_EN: 1
; COMPUTE_PGM_RSRC2:TGID_Y_EN: 0
; COMPUTE_PGM_RSRC2:TGID_Z_EN: 0
; COMPUTE_PGM_RSRC2:TIDIG_COMP_CNT: 0
	.type	__hip_cuid_97067dccdcd5c5c3,@object ; @__hip_cuid_97067dccdcd5c5c3
	.section	.bss,"aw",@nobits
	.globl	__hip_cuid_97067dccdcd5c5c3
__hip_cuid_97067dccdcd5c5c3:
	.byte	0                               ; 0x0
	.size	__hip_cuid_97067dccdcd5c5c3, 1

	.ident	"AMD clang version 19.0.0git (https://github.com/RadeonOpenCompute/llvm-project roc-6.4.0 25133 c7fe45cf4b819c5991fe208aaa96edf142730f1d)"
	.section	".note.GNU-stack","",@progbits
	.addrsig
	.addrsig_sym __hip_cuid_97067dccdcd5c5c3
	.amdgpu_metadata
---
amdhsa.kernels:
  - .args:
      - .actual_access:  read_only
        .address_space:  global
        .offset:         0
        .size:           8
        .value_kind:     global_buffer
      - .offset:         8
        .size:           8
        .value_kind:     by_value
      - .actual_access:  read_only
        .address_space:  global
        .offset:         16
        .size:           8
        .value_kind:     global_buffer
      - .actual_access:  read_only
        .address_space:  global
        .offset:         24
        .size:           8
        .value_kind:     global_buffer
      - .offset:         32
        .size:           8
        .value_kind:     by_value
      - .actual_access:  read_only
        .address_space:  global
        .offset:         40
        .size:           8
        .value_kind:     global_buffer
      - .actual_access:  read_only
        .address_space:  global
        .offset:         48
        .size:           8
        .value_kind:     global_buffer
      - .offset:         56
        .size:           4
        .value_kind:     by_value
      - .actual_access:  read_only
        .address_space:  global
        .offset:         64
        .size:           8
        .value_kind:     global_buffer
      - .actual_access:  read_only
        .address_space:  global
        .offset:         72
        .size:           8
        .value_kind:     global_buffer
      - .address_space:  global
        .offset:         80
        .size:           8
        .value_kind:     global_buffer
    .group_segment_fixed_size: 0
    .kernarg_segment_align: 8
    .kernarg_segment_size: 88
    .language:       OpenCL C
    .language_version:
      - 2
      - 0
    .max_flat_workgroup_size: 110
    .name:           fft_rtc_back_len660_factors_11_6_10_wgs_110_tpt_110_halfLds_half_ip_CI_sbrr_dirReg
    .private_segment_fixed_size: 0
    .sgpr_count:     32
    .sgpr_spill_count: 0
    .symbol:         fft_rtc_back_len660_factors_11_6_10_wgs_110_tpt_110_halfLds_half_ip_CI_sbrr_dirReg.kd
    .uniform_work_group_size: 1
    .uses_dynamic_stack: false
    .vgpr_count:     63
    .vgpr_spill_count: 0
    .wavefront_size: 64
amdhsa.target:   amdgcn-amd-amdhsa--gfx906
amdhsa.version:
  - 1
  - 2
...

	.end_amdgpu_metadata
